;; amdgpu-corpus repo=ROCm/rocFFT kind=compiled arch=gfx1030 opt=O3
	.text
	.amdgcn_target "amdgcn-amd-amdhsa--gfx1030"
	.amdhsa_code_object_version 6
	.protected	fft_rtc_back_len1800_factors_10_6_10_3_wgs_180_tpt_180_halfLds_sp_ip_CI_unitstride_sbrr_R2C_dirReg ; -- Begin function fft_rtc_back_len1800_factors_10_6_10_3_wgs_180_tpt_180_halfLds_sp_ip_CI_unitstride_sbrr_R2C_dirReg
	.globl	fft_rtc_back_len1800_factors_10_6_10_3_wgs_180_tpt_180_halfLds_sp_ip_CI_unitstride_sbrr_R2C_dirReg
	.p2align	8
	.type	fft_rtc_back_len1800_factors_10_6_10_3_wgs_180_tpt_180_halfLds_sp_ip_CI_unitstride_sbrr_R2C_dirReg,@function
fft_rtc_back_len1800_factors_10_6_10_3_wgs_180_tpt_180_halfLds_sp_ip_CI_unitstride_sbrr_R2C_dirReg: ; @fft_rtc_back_len1800_factors_10_6_10_3_wgs_180_tpt_180_halfLds_sp_ip_CI_unitstride_sbrr_R2C_dirReg
; %bb.0:
	s_clause 0x2
	s_load_dwordx4 s[8:11], s[4:5], 0x0
	s_load_dwordx2 s[2:3], s[4:5], 0x50
	s_load_dwordx2 s[12:13], s[4:5], 0x18
	v_mul_u32_u24_e32 v1, 0x16d, v0
	v_mov_b32_e32 v3, 0
	v_add_nc_u32_sdwa v5, s6, v1 dst_sel:DWORD dst_unused:UNUSED_PAD src0_sel:DWORD src1_sel:WORD_1
	v_mov_b32_e32 v1, 0
	v_mov_b32_e32 v6, v3
	v_mov_b32_e32 v2, 0
	s_waitcnt lgkmcnt(0)
	v_cmp_lt_u64_e64 s0, s[10:11], 2
	s_and_b32 vcc_lo, exec_lo, s0
	s_cbranch_vccnz .LBB0_8
; %bb.1:
	s_load_dwordx2 s[0:1], s[4:5], 0x10
	v_mov_b32_e32 v1, 0
	s_add_u32 s6, s12, 8
	v_mov_b32_e32 v2, 0
	s_addc_u32 s7, s13, 0
	s_mov_b64 s[16:17], 1
	s_waitcnt lgkmcnt(0)
	s_add_u32 s14, s0, 8
	s_addc_u32 s15, s1, 0
.LBB0_2:                                ; =>This Inner Loop Header: Depth=1
	s_load_dwordx2 s[18:19], s[14:15], 0x0
                                        ; implicit-def: $vgpr7_vgpr8
	s_mov_b32 s0, exec_lo
	s_waitcnt lgkmcnt(0)
	v_or_b32_e32 v4, s19, v6
	v_cmpx_ne_u64_e32 0, v[3:4]
	s_xor_b32 s1, exec_lo, s0
	s_cbranch_execz .LBB0_4
; %bb.3:                                ;   in Loop: Header=BB0_2 Depth=1
	v_cvt_f32_u32_e32 v4, s18
	v_cvt_f32_u32_e32 v7, s19
	s_sub_u32 s0, 0, s18
	s_subb_u32 s20, 0, s19
	v_fmac_f32_e32 v4, 0x4f800000, v7
	v_rcp_f32_e32 v4, v4
	v_mul_f32_e32 v4, 0x5f7ffffc, v4
	v_mul_f32_e32 v7, 0x2f800000, v4
	v_trunc_f32_e32 v7, v7
	v_fmac_f32_e32 v4, 0xcf800000, v7
	v_cvt_u32_f32_e32 v7, v7
	v_cvt_u32_f32_e32 v4, v4
	v_mul_lo_u32 v8, s0, v7
	v_mul_hi_u32 v9, s0, v4
	v_mul_lo_u32 v10, s20, v4
	v_add_nc_u32_e32 v8, v9, v8
	v_mul_lo_u32 v9, s0, v4
	v_add_nc_u32_e32 v8, v8, v10
	v_mul_hi_u32 v10, v4, v9
	v_mul_lo_u32 v11, v4, v8
	v_mul_hi_u32 v12, v4, v8
	v_mul_hi_u32 v13, v7, v9
	v_mul_lo_u32 v9, v7, v9
	v_mul_hi_u32 v14, v7, v8
	v_mul_lo_u32 v8, v7, v8
	v_add_co_u32 v10, vcc_lo, v10, v11
	v_add_co_ci_u32_e32 v11, vcc_lo, 0, v12, vcc_lo
	v_add_co_u32 v9, vcc_lo, v10, v9
	v_add_co_ci_u32_e32 v9, vcc_lo, v11, v13, vcc_lo
	v_add_co_ci_u32_e32 v10, vcc_lo, 0, v14, vcc_lo
	v_add_co_u32 v8, vcc_lo, v9, v8
	v_add_co_ci_u32_e32 v9, vcc_lo, 0, v10, vcc_lo
	v_add_co_u32 v4, vcc_lo, v4, v8
	v_add_co_ci_u32_e32 v7, vcc_lo, v7, v9, vcc_lo
	v_mul_hi_u32 v8, s0, v4
	v_mul_lo_u32 v10, s20, v4
	v_mul_lo_u32 v9, s0, v7
	v_add_nc_u32_e32 v8, v8, v9
	v_mul_lo_u32 v9, s0, v4
	v_add_nc_u32_e32 v8, v8, v10
	v_mul_hi_u32 v10, v4, v9
	v_mul_lo_u32 v11, v4, v8
	v_mul_hi_u32 v12, v4, v8
	v_mul_hi_u32 v13, v7, v9
	v_mul_lo_u32 v9, v7, v9
	v_mul_hi_u32 v14, v7, v8
	v_mul_lo_u32 v8, v7, v8
	v_add_co_u32 v10, vcc_lo, v10, v11
	v_add_co_ci_u32_e32 v11, vcc_lo, 0, v12, vcc_lo
	v_add_co_u32 v9, vcc_lo, v10, v9
	v_add_co_ci_u32_e32 v9, vcc_lo, v11, v13, vcc_lo
	v_add_co_ci_u32_e32 v10, vcc_lo, 0, v14, vcc_lo
	v_add_co_u32 v8, vcc_lo, v9, v8
	v_add_co_ci_u32_e32 v9, vcc_lo, 0, v10, vcc_lo
	v_add_co_u32 v4, vcc_lo, v4, v8
	v_add_co_ci_u32_e32 v11, vcc_lo, v7, v9, vcc_lo
	v_mul_hi_u32 v13, v5, v4
	v_mad_u64_u32 v[9:10], null, v6, v4, 0
	v_mad_u64_u32 v[7:8], null, v5, v11, 0
	;; [unrolled: 1-line block ×3, first 2 shown]
	v_add_co_u32 v4, vcc_lo, v13, v7
	v_add_co_ci_u32_e32 v7, vcc_lo, 0, v8, vcc_lo
	v_add_co_u32 v4, vcc_lo, v4, v9
	v_add_co_ci_u32_e32 v4, vcc_lo, v7, v10, vcc_lo
	v_add_co_ci_u32_e32 v7, vcc_lo, 0, v12, vcc_lo
	v_add_co_u32 v4, vcc_lo, v4, v11
	v_add_co_ci_u32_e32 v9, vcc_lo, 0, v7, vcc_lo
	v_mul_lo_u32 v10, s19, v4
	v_mad_u64_u32 v[7:8], null, s18, v4, 0
	v_mul_lo_u32 v11, s18, v9
	v_sub_co_u32 v7, vcc_lo, v5, v7
	v_add3_u32 v8, v8, v11, v10
	v_sub_nc_u32_e32 v10, v6, v8
	v_subrev_co_ci_u32_e64 v10, s0, s19, v10, vcc_lo
	v_add_co_u32 v11, s0, v4, 2
	v_add_co_ci_u32_e64 v12, s0, 0, v9, s0
	v_sub_co_u32 v13, s0, v7, s18
	v_sub_co_ci_u32_e32 v8, vcc_lo, v6, v8, vcc_lo
	v_subrev_co_ci_u32_e64 v10, s0, 0, v10, s0
	v_cmp_le_u32_e32 vcc_lo, s18, v13
	v_cmp_eq_u32_e64 s0, s19, v8
	v_cndmask_b32_e64 v13, 0, -1, vcc_lo
	v_cmp_le_u32_e32 vcc_lo, s19, v10
	v_cndmask_b32_e64 v14, 0, -1, vcc_lo
	v_cmp_le_u32_e32 vcc_lo, s18, v7
	;; [unrolled: 2-line block ×3, first 2 shown]
	v_cndmask_b32_e64 v15, 0, -1, vcc_lo
	v_cmp_eq_u32_e32 vcc_lo, s19, v10
	v_cndmask_b32_e64 v7, v15, v7, s0
	v_cndmask_b32_e32 v10, v14, v13, vcc_lo
	v_add_co_u32 v13, vcc_lo, v4, 1
	v_add_co_ci_u32_e32 v14, vcc_lo, 0, v9, vcc_lo
	v_cmp_ne_u32_e32 vcc_lo, 0, v10
	v_cndmask_b32_e32 v8, v14, v12, vcc_lo
	v_cndmask_b32_e32 v10, v13, v11, vcc_lo
	v_cmp_ne_u32_e32 vcc_lo, 0, v7
	v_cndmask_b32_e32 v8, v9, v8, vcc_lo
	v_cndmask_b32_e32 v7, v4, v10, vcc_lo
.LBB0_4:                                ;   in Loop: Header=BB0_2 Depth=1
	s_andn2_saveexec_b32 s0, s1
	s_cbranch_execz .LBB0_6
; %bb.5:                                ;   in Loop: Header=BB0_2 Depth=1
	v_cvt_f32_u32_e32 v4, s18
	s_sub_i32 s1, 0, s18
	v_rcp_iflag_f32_e32 v4, v4
	v_mul_f32_e32 v4, 0x4f7ffffe, v4
	v_cvt_u32_f32_e32 v4, v4
	v_mul_lo_u32 v7, s1, v4
	v_mul_hi_u32 v7, v4, v7
	v_add_nc_u32_e32 v4, v4, v7
	v_mul_hi_u32 v4, v5, v4
	v_mul_lo_u32 v7, v4, s18
	v_add_nc_u32_e32 v8, 1, v4
	v_sub_nc_u32_e32 v7, v5, v7
	v_subrev_nc_u32_e32 v9, s18, v7
	v_cmp_le_u32_e32 vcc_lo, s18, v7
	v_cndmask_b32_e32 v7, v7, v9, vcc_lo
	v_cndmask_b32_e32 v4, v4, v8, vcc_lo
	v_cmp_le_u32_e32 vcc_lo, s18, v7
	v_add_nc_u32_e32 v8, 1, v4
	v_cndmask_b32_e32 v7, v4, v8, vcc_lo
	v_mov_b32_e32 v8, v3
.LBB0_6:                                ;   in Loop: Header=BB0_2 Depth=1
	s_or_b32 exec_lo, exec_lo, s0
	s_load_dwordx2 s[0:1], s[6:7], 0x0
	v_mul_lo_u32 v4, v8, s18
	v_mul_lo_u32 v11, v7, s19
	v_mad_u64_u32 v[9:10], null, v7, s18, 0
	s_add_u32 s16, s16, 1
	s_addc_u32 s17, s17, 0
	s_add_u32 s6, s6, 8
	s_addc_u32 s7, s7, 0
	;; [unrolled: 2-line block ×3, first 2 shown]
	v_add3_u32 v4, v10, v11, v4
	v_sub_co_u32 v5, vcc_lo, v5, v9
	v_sub_co_ci_u32_e32 v4, vcc_lo, v6, v4, vcc_lo
	s_waitcnt lgkmcnt(0)
	v_mul_lo_u32 v6, s1, v5
	v_mul_lo_u32 v4, s0, v4
	v_mad_u64_u32 v[1:2], null, s0, v5, v[1:2]
	v_cmp_ge_u64_e64 s0, s[16:17], s[10:11]
	s_and_b32 vcc_lo, exec_lo, s0
	v_add3_u32 v2, v6, v2, v4
	s_cbranch_vccnz .LBB0_9
; %bb.7:                                ;   in Loop: Header=BB0_2 Depth=1
	v_mov_b32_e32 v5, v7
	v_mov_b32_e32 v6, v8
	s_branch .LBB0_2
.LBB0_8:
	v_mov_b32_e32 v8, v6
	v_mov_b32_e32 v7, v5
.LBB0_9:
	s_lshl_b64 s[0:1], s[10:11], 3
	v_mul_hi_u32 v3, 0x16c16c2, v0
	s_add_u32 s0, s12, s0
	s_addc_u32 s1, s13, s1
	s_load_dwordx2 s[0:1], s[0:1], 0x0
	s_load_dwordx2 s[4:5], s[4:5], 0x20
	v_mul_u32_u24_e32 v3, 0xb4, v3
	v_sub_nc_u32_e32 v12, v0, v3
	v_add_nc_u32_e32 v14, 0xb4, v12
	s_waitcnt lgkmcnt(0)
	v_mul_lo_u32 v4, s0, v8
	v_mul_lo_u32 v5, s1, v7
	v_mad_u64_u32 v[1:2], null, s0, v7, v[1:2]
	v_cmp_gt_u64_e32 vcc_lo, s[4:5], v[7:8]
	v_cmp_le_u64_e64 s0, s[4:5], v[7:8]
	v_add3_u32 v2, v5, v2, v4
	s_and_saveexec_b32 s1, s0
	s_xor_b32 s0, exec_lo, s1
; %bb.10:
	v_add_nc_u32_e32 v14, 0xb4, v12
; %bb.11:
	s_or_saveexec_b32 s1, s0
	v_lshlrev_b64 v[16:17], 3, v[1:2]
	v_lshl_add_u32 v35, v12, 3, 0
	s_xor_b32 exec_lo, exec_lo, s1
	s_cbranch_execz .LBB0_13
; %bb.12:
	v_mov_b32_e32 v13, 0
	v_add_co_u32 v2, s0, s2, v16
	v_add_co_ci_u32_e64 v3, s0, s3, v17, s0
	v_lshlrev_b64 v[0:1], 3, v[12:13]
	v_add_nc_u32_e32 v13, 0xa00, v35
	v_add_nc_u32_e32 v15, 0x1600, v35
	;; [unrolled: 1-line block ×4, first 2 shown]
	v_add_co_u32 v0, s0, v2, v0
	v_add_co_ci_u32_e64 v1, s0, v3, v1, s0
	v_add_co_u32 v2, s0, 0x800, v0
	v_add_co_ci_u32_e64 v3, s0, 0, v1, s0
	v_add_co_u32 v4, s0, 0x1000, v0
	v_add_co_ci_u32_e64 v5, s0, 0, v1, s0
	v_add_co_u32 v18, s0, 0x1800, v0
	v_add_co_ci_u32_e64 v19, s0, 0, v1, s0
	v_add_co_u32 v20, s0, 0x2000, v0
	v_add_co_ci_u32_e64 v21, s0, 0, v1, s0
	v_add_co_u32 v22, s0, 0x2800, v0
	v_add_co_ci_u32_e64 v23, s0, 0, v1, s0
	s_clause 0x3
	global_load_dwordx2 v[6:7], v[0:1], off
	global_load_dwordx2 v[8:9], v[0:1], off offset:1440
	global_load_dwordx2 v[2:3], v[2:3], off offset:832
	;; [unrolled: 1-line block ×3, first 2 shown]
	v_add_co_u32 v0, s0, 0x3000, v0
	v_add_co_ci_u32_e64 v1, s0, 0, v1, s0
	s_clause 0x5
	global_load_dwordx2 v[4:5], v[4:5], off offset:1664
	global_load_dwordx2 v[18:19], v[18:19], off offset:1056
	;; [unrolled: 1-line block ×6, first 2 shown]
	s_waitcnt vmcnt(8)
	ds_write2_b64 v35, v[6:7], v[8:9] offset1:180
	s_waitcnt vmcnt(6)
	ds_write2_b64 v13, v[2:3], v[10:11] offset0:40 offset1:220
	s_waitcnt vmcnt(4)
	ds_write2_b64 v15, v[4:5], v[18:19] offset0:16 offset1:196
	;; [unrolled: 2-line block ×4, first 2 shown]
.LBB0_13:
	s_or_b32 exec_lo, exec_lo, s1
	v_add_nc_u32_e32 v4, 0xa00, v35
	v_add_nc_u32_e32 v8, 0x1600, v35
	;; [unrolled: 1-line block ×4, first 2 shown]
	s_waitcnt lgkmcnt(0)
	s_barrier
	buffer_gl0_inv
	ds_read2_b64 v[0:3], v35 offset1:180
	ds_read2_b64 v[4:7], v4 offset0:40 offset1:220
	ds_read2_b64 v[8:11], v8 offset0:16 offset1:196
	;; [unrolled: 1-line block ×4, first 2 shown]
	s_waitcnt lgkmcnt(0)
	s_barrier
	buffer_gl0_inv
	v_cmp_gt_u32_e64 s0, 0x78, v12
	v_add_f32_e32 v15, v0, v4
	v_sub_f32_e32 v29, v4, v8
	v_add_f32_e32 v26, v8, v18
	v_sub_f32_e32 v30, v22, v18
	;; [unrolled: 2-line block ×3, first 2 shown]
	v_add_f32_e32 v34, v1, v5
	v_add_f32_e32 v15, v15, v8
	;; [unrolled: 1-line block ×3, first 2 shown]
	v_fma_f32 v30, -0.5, v31, v0
	v_sub_f32_e32 v27, v5, v23
	v_sub_f32_e32 v32, v8, v4
	;; [unrolled: 1-line block ×3, first 2 shown]
	v_add_f32_e32 v36, v9, v19
	v_fma_f32 v26, -0.5, v26, v0
	v_add_f32_e32 v31, v34, v9
	v_add_f32_e32 v15, v15, v18
	v_fmamk_f32 v34, v28, 0x3f737871, v30
	v_fmac_f32_e32 v30, 0xbf737871, v28
	v_sub_f32_e32 v4, v4, v22
	v_add_f32_e32 v0, v32, v33
	v_fma_f32 v32, -0.5, v36, v1
	v_fmamk_f32 v33, v27, 0xbf737871, v26
	v_fmac_f32_e32 v26, 0x3f737871, v27
	v_fmac_f32_e32 v34, 0xbf167918, v27
	v_add_f32_e32 v15, v15, v22
	v_fmac_f32_e32 v30, 0x3f167918, v27
	v_add_f32_e32 v22, v5, v23
	v_sub_f32_e32 v8, v8, v18
	v_sub_f32_e32 v18, v5, v9
	;; [unrolled: 1-line block ×3, first 2 shown]
	v_fmamk_f32 v36, v4, 0x3f737871, v32
	v_fmac_f32_e32 v33, 0xbf167918, v28
	v_fmac_f32_e32 v26, 0x3f167918, v28
	;; [unrolled: 1-line block ×4, first 2 shown]
	v_fma_f32 v28, -0.5, v22, v1
	v_add_f32_e32 v0, v18, v27
	v_fmac_f32_e32 v32, 0xbf737871, v4
	v_sub_f32_e32 v5, v9, v5
	v_sub_f32_e32 v9, v19, v23
	v_add_f32_e32 v18, v2, v6
	v_fmac_f32_e32 v36, 0x3f167918, v8
	v_fmamk_f32 v27, v8, 0xbf737871, v28
	v_fmac_f32_e32 v32, 0xbf167918, v8
	v_add_f32_e32 v5, v5, v9
	v_fmac_f32_e32 v28, 0x3f737871, v8
	v_add_f32_e32 v8, v18, v10
	v_add_f32_e32 v9, v10, v20
	v_fmac_f32_e32 v36, 0x3e9e377a, v0
	v_fmac_f32_e32 v27, 0x3f167918, v4
	;; [unrolled: 1-line block ×4, first 2 shown]
	v_add_f32_e32 v0, v8, v20
	v_fma_f32 v4, -0.5, v9, v2
	v_add_f32_e32 v8, v6, v24
	v_sub_f32_e32 v9, v7, v25
	v_add_f32_e32 v31, v31, v19
	v_fmac_f32_e32 v27, 0x3e9e377a, v5
	v_fmac_f32_e32 v28, 0x3e9e377a, v5
	v_sub_f32_e32 v5, v11, v21
	v_fma_f32 v8, -0.5, v8, v2
	v_fmamk_f32 v19, v9, 0xbf737871, v4
	v_sub_f32_e32 v2, v6, v10
	v_sub_f32_e32 v18, v24, v20
	v_fmac_f32_e32 v4, 0x3f737871, v9
	v_fmac_f32_e32 v33, 0x3e9e377a, v29
	;; [unrolled: 1-line block ×4, first 2 shown]
	v_add_f32_e32 v2, v2, v18
	v_fmac_f32_e32 v4, 0x3f167918, v5
	v_add_f32_e32 v1, v31, v23
	v_fmamk_f32 v23, v5, 0x3f737871, v8
	v_sub_f32_e32 v22, v10, v6
	v_sub_f32_e32 v29, v20, v24
	v_fmac_f32_e32 v8, 0xbf737871, v5
	v_add_f32_e32 v5, v11, v21
	v_fmac_f32_e32 v19, 0x3e9e377a, v2
	v_fmac_f32_e32 v4, 0x3e9e377a, v2
	v_add_f32_e32 v2, v7, v25
	v_fmac_f32_e32 v23, 0xbf167918, v9
	v_add_f32_e32 v18, v22, v29
	v_fmac_f32_e32 v8, 0x3f167918, v9
	v_fma_f32 v5, -0.5, v5, v3
	v_sub_f32_e32 v6, v6, v24
	v_add_f32_e32 v9, v3, v7
	v_sub_f32_e32 v10, v10, v20
	v_fmac_f32_e32 v3, -0.5, v2
	v_add_f32_e32 v0, v0, v24
	v_fmac_f32_e32 v23, 0x3e9e377a, v18
	v_fmac_f32_e32 v8, 0x3e9e377a, v18
	v_fmamk_f32 v24, v6, 0x3f737871, v5
	v_sub_f32_e32 v2, v7, v11
	v_sub_f32_e32 v18, v25, v21
	v_fmamk_f32 v22, v10, 0xbf737871, v3
	v_sub_f32_e32 v7, v11, v7
	v_sub_f32_e32 v20, v21, v25
	v_fmac_f32_e32 v3, 0x3f737871, v10
	v_fmac_f32_e32 v5, 0xbf737871, v6
	;; [unrolled: 1-line block ×3, first 2 shown]
	v_add_f32_e32 v2, v2, v18
	v_fmac_f32_e32 v22, 0x3f167918, v6
	v_add_f32_e32 v7, v7, v20
	v_fmac_f32_e32 v3, 0xbf167918, v6
	v_fmac_f32_e32 v5, 0xbf167918, v10
	v_add_f32_e32 v6, v9, v11
	v_fmac_f32_e32 v24, 0x3e9e377a, v2
	v_fmac_f32_e32 v22, 0x3e9e377a, v7
	;; [unrolled: 1-line block ×4, first 2 shown]
	v_add_f32_e32 v6, v6, v21
	v_mul_f32_e32 v7, 0xbf167918, v24
	v_mul_f32_e32 v37, 0x3f167918, v19
	;; [unrolled: 1-line block ×8, first 2 shown]
	v_add_f32_e32 v25, v6, v25
	v_fmac_f32_e32 v7, 0x3f4f1bbd, v19
	v_fmac_f32_e32 v37, 0x3f4f1bbd, v24
	;; [unrolled: 1-line block ×8, first 2 shown]
	v_add_f32_e32 v2, v15, v0
	v_add_f32_e32 v10, v33, v7
	;; [unrolled: 1-line block ×4, first 2 shown]
	v_sub_f32_e32 v24, v15, v0
	v_mad_u32_u24 v15, 0x48, v12, v35
	v_add_f32_e32 v18, v34, v9
	v_add_f32_e32 v20, v30, v29
	;; [unrolled: 1-line block ×6, first 2 shown]
	v_sub_f32_e32 v25, v1, v25
	v_sub_f32_e32 v0, v33, v7
	;; [unrolled: 1-line block ×9, first 2 shown]
	ds_write2_b64 v15, v[2:3], v[10:11] offset1:1
	ds_write2_b64 v15, v[18:19], v[20:21] offset0:2 offset1:3
	ds_write2_b64 v15, v[22:23], v[24:25] offset0:4 offset1:5
	;; [unrolled: 1-line block ×4, first 2 shown]
	s_waitcnt lgkmcnt(0)
	s_barrier
	buffer_gl0_inv
	ds_read_b64 v[2:3], v35
	ds_read_b64 v[28:29], v35 offset:2400
	ds_read_b64 v[26:27], v35 offset:4800
	ds_read_b64 v[20:21], v35 offset:7200
	ds_read_b64 v[18:19], v35 offset:9600
	ds_read_b64 v[10:11], v35 offset:12000
	v_lshl_add_u32 v36, v14, 3, 0
                                        ; implicit-def: $vgpr23
                                        ; implicit-def: $vgpr25
	s_and_saveexec_b32 s1, s0
	s_cbranch_execz .LBB0_15
; %bb.14:
	ds_read2_b32 v[4:5], v13 offset0:112 offset1:113
	ds_read_b64 v[0:1], v36
	ds_read_b64 v[8:9], v35 offset:3840
	ds_read_b64 v[6:7], v35 offset:6240
	;; [unrolled: 1-line block ×4, first 2 shown]
.LBB0_15:
	s_or_b32 exec_lo, exec_lo, s1
	v_and_b32_e32 v15, 0xff, v12
	v_mov_b32_e32 v33, 5
	v_mov_b32_e32 v56, 0x1e0
	v_mul_lo_u16 v13, 0xcd, v15
	v_lshrrev_b16 v32, 11, v13
	v_mov_b32_e32 v13, 0xcccd
	v_mul_lo_u16 v30, v32, 10
	v_mul_u32_u24_sdwa v13, v14, v13 dst_sel:DWORD dst_unused:UNUSED_PAD src0_sel:WORD_0 src1_sel:DWORD
	v_mul_u32_u24_sdwa v32, v32, v56 dst_sel:DWORD dst_unused:UNUSED_PAD src0_sel:WORD_0 src1_sel:DWORD
	v_sub_nc_u16 v55, v12, v30
	v_lshrrev_b32_e32 v30, 19, v13
	v_mul_u32_u24_sdwa v13, v55, v33 dst_sel:DWORD dst_unused:UNUSED_PAD src0_sel:BYTE_0 src1_sel:DWORD
	v_mul_lo_u16 v31, v30, 10
	v_lshlrev_b32_e32 v13, 3, v13
	v_sub_nc_u16 v31, v14, v31
	s_clause 0x1
	global_load_dwordx4 v[37:40], v13, s[8:9]
	global_load_dwordx4 v[41:44], v13, s[8:9] offset:16
	v_mul_u32_u24_sdwa v33, v31, v33 dst_sel:DWORD dst_unused:UNUSED_PAD src0_sel:WORD_0 src1_sel:DWORD
	v_lshlrev_b32_e32 v53, 3, v33
	s_clause 0x3
	global_load_dwordx2 v[33:34], v13, s[8:9] offset:32
	global_load_dwordx4 v[45:48], v53, s[8:9]
	global_load_dwordx4 v[49:52], v53, s[8:9] offset:16
	global_load_dwordx2 v[53:54], v53, s[8:9] offset:32
	v_mov_b32_e32 v13, 3
	s_waitcnt vmcnt(0) lgkmcnt(0)
	s_barrier
	buffer_gl0_inv
	v_lshlrev_b32_sdwa v55, v13, v55 dst_sel:DWORD dst_unused:UNUSED_PAD src0_sel:DWORD src1_sel:BYTE_0
	v_add3_u32 v55, 0, v32, v55
	v_mul_f32_e32 v56, v38, v29
	v_mul_f32_e32 v32, v38, v28
	;; [unrolled: 1-line block ×7, first 2 shown]
	v_fmac_f32_e32 v56, v37, v28
	v_fma_f32 v59, v37, v29, -v32
	v_mul_f32_e32 v32, v44, v18
	v_mul_f32_e32 v37, v34, v11
	v_fmac_f32_e32 v38, v39, v26
	v_fma_f32 v39, v39, v27, -v40
	v_mul_f32_e32 v34, v34, v10
	v_mul_f32_e32 v27, v7, v48
	;; [unrolled: 1-line block ×3, first 2 shown]
	v_fmac_f32_e32 v57, v41, v20
	v_fma_f32 v20, v41, v21, -v42
	v_mul_f32_e32 v21, v4, v50
	v_mul_f32_e32 v41, v22, v54
	v_mul_f32_e32 v26, v9, v46
	v_mul_f32_e32 v40, v8, v46
	v_mul_f32_e32 v28, v5, v50
	v_fmac_f32_e32 v58, v43, v18
	v_fma_f32 v18, v43, v19, -v32
	v_mul_f32_e32 v32, v23, v54
	v_fmac_f32_e32 v37, v33, v10
	v_fma_f32 v10, v33, v11, -v34
	v_fmac_f32_e32 v27, v6, v47
	v_fma_f32 v6, v7, v47, -v44
	v_fma_f32 v7, v5, v49, -v21
	;; [unrolled: 1-line block ×3, first 2 shown]
	v_mul_f32_e32 v29, v25, v52
	v_mul_f32_e32 v19, v24, v52
	v_fmac_f32_e32 v26, v8, v45
	v_fma_f32 v8, v9, v45, -v40
	v_fmac_f32_e32 v28, v4, v49
	v_fmac_f32_e32 v32, v22, v53
	v_add_f32_e32 v11, v38, v58
	v_add_f32_e32 v21, v3, v39
	v_sub_f32_e32 v33, v20, v10
	v_add_f32_e32 v34, v59, v20
	v_add_f32_e32 v20, v20, v10
	;; [unrolled: 1-line block ×3, first 2 shown]
	v_fmac_f32_e32 v29, v24, v51
	v_fma_f32 v4, v25, v51, -v19
	v_add_f32_e32 v9, v2, v38
	v_add_f32_e32 v22, v39, v18
	v_sub_f32_e32 v23, v38, v58
	v_add_f32_e32 v24, v56, v57
	v_add_f32_e32 v25, v57, v37
	v_sub_f32_e32 v38, v57, v37
	v_add_f32_e32 v43, v28, v32
	v_sub_f32_e32 v46, v28, v32
	v_fma_f32 v48, -0.5, v11, v2
	v_add_f32_e32 v11, v21, v18
	v_fmac_f32_e32 v59, -0.5, v20
	v_fma_f32 v21, -0.5, v45, v8
	v_sub_f32_e32 v19, v39, v18
	v_add_f32_e32 v39, v27, v29
	v_add_f32_e32 v41, v6, v4
	v_sub_f32_e32 v44, v7, v5
	v_add_f32_e32 v47, v9, v58
	v_fmac_f32_e32 v3, -0.5, v22
	v_add_f32_e32 v18, v24, v37
	v_fmac_f32_e32 v56, -0.5, v25
	v_fma_f32 v20, -0.5, v43, v26
	v_fmamk_f32 v22, v38, 0x3f5db3d7, v59
	v_fmamk_f32 v24, v46, 0x3f5db3d7, v21
	v_fmac_f32_e32 v21, 0xbf5db3d7, v46
	v_fmac_f32_e32 v59, 0xbf5db3d7, v38
	v_sub_f32_e32 v40, v6, v4
	v_sub_f32_e32 v42, v27, v29
	v_add_f32_e32 v10, v34, v10
	v_fma_f32 v2, -0.5, v39, v0
	v_fma_f32 v9, -0.5, v41, v1
	v_fmamk_f32 v43, v19, 0xbf5db3d7, v48
	v_fmac_f32_e32 v48, 0x3f5db3d7, v19
	v_fmamk_f32 v19, v23, 0x3f5db3d7, v3
	v_fmac_f32_e32 v3, 0xbf5db3d7, v23
	;; [unrolled: 2-line block ×3, first 2 shown]
	v_add_f32_e32 v33, v47, v18
	v_sub_f32_e32 v37, v47, v18
	v_fmamk_f32 v18, v44, 0xbf5db3d7, v20
	v_fmac_f32_e32 v20, 0x3f5db3d7, v44
	v_mul_f32_e32 v44, 0xbf5db3d7, v22
	v_mul_f32_e32 v46, 0.5, v22
	v_mul_f32_e32 v23, 0xbf5db3d7, v24
	v_mul_f32_e32 v22, 0xbf5db3d7, v21
	v_mul_f32_e32 v24, 0.5, v24
	v_mul_f32_e32 v25, -0.5, v21
	v_mul_f32_e32 v45, 0xbf5db3d7, v59
	v_mul_f32_e32 v47, -0.5, v59
	v_add_f32_e32 v34, v11, v10
	v_sub_f32_e32 v38, v11, v10
	v_fmamk_f32 v10, v40, 0xbf5db3d7, v2
	v_fmac_f32_e32 v2, 0x3f5db3d7, v40
	v_fmamk_f32 v11, v42, 0x3f5db3d7, v9
	v_fmac_f32_e32 v9, 0xbf5db3d7, v42
	v_fmac_f32_e32 v44, 0.5, v39
	v_fmac_f32_e32 v46, 0x3f5db3d7, v39
	v_fmac_f32_e32 v23, 0.5, v18
	v_fmac_f32_e32 v22, -0.5, v20
	v_fmac_f32_e32 v24, 0x3f5db3d7, v18
	v_fmac_f32_e32 v25, 0x3f5db3d7, v20
	v_fmac_f32_e32 v45, -0.5, v56
	v_fmac_f32_e32 v47, 0x3f5db3d7, v56
	v_add_f32_e32 v39, v43, v44
	v_add_f32_e32 v40, v19, v46
	v_sub_f32_e32 v43, v43, v44
	v_sub_f32_e32 v44, v19, v46
	;; [unrolled: 1-line block ×6, first 2 shown]
	v_add_f32_e32 v41, v48, v45
	v_add_f32_e32 v42, v3, v47
	v_sub_f32_e32 v45, v48, v45
	v_sub_f32_e32 v46, v3, v47
	ds_write2_b64 v55, v[33:34], v[39:40] offset1:10
	ds_write2_b64 v55, v[41:42], v[37:38] offset0:20 offset1:30
	ds_write2_b64 v55, v[43:44], v[45:46] offset0:40 offset1:50
	s_and_saveexec_b32 s1, s0
	s_cbranch_execz .LBB0_17
; %bb.16:
	v_add_f32_e32 v3, v8, v7
	v_add_f32_e32 v1, v1, v6
	;; [unrolled: 1-line block ×6, first 2 shown]
	v_mul_lo_u16 v5, v30, 60
	v_add_f32_e32 v4, v1, v4
	v_add_f32_e32 v8, v0, v29
	;; [unrolled: 1-line block ×4, first 2 shown]
	v_lshlrev_b32_sdwa v9, v13, v31 dst_sel:DWORD dst_unused:UNUSED_PAD src0_sel:DWORD src1_sel:WORD_0
	v_lshlrev_b32_sdwa v25, v13, v5 dst_sel:DWORD dst_unused:UNUSED_PAD src0_sel:DWORD src1_sel:WORD_0
	v_sub_f32_e32 v1, v4, v7
	v_sub_f32_e32 v0, v8, v6
	v_add_f32_e32 v5, v11, v24
	v_add_f32_e32 v7, v4, v7
	;; [unrolled: 1-line block ×4, first 2 shown]
	v_add3_u32 v8, 0, v9, v25
	ds_write2_b64 v8, v[6:7], v[4:5] offset1:10
	ds_write2_b64 v8, v[2:3], v[0:1] offset0:20 offset1:30
	ds_write2_b64 v8, v[18:19], v[20:21] offset0:40 offset1:50
.LBB0_17:
	s_or_b32 exec_lo, exec_lo, s1
	v_mul_lo_u16 v0, 0x89, v15
	v_mov_b32_e32 v1, 9
	s_waitcnt lgkmcnt(0)
	s_barrier
	buffer_gl0_inv
	v_lshrrev_b16 v15, 13, v0
	v_add_nc_u32_e32 v30, 0xa00, v35
	v_add_nc_u32_e32 v37, 0x1600, v35
	v_mov_b32_e32 v41, 0x12c0
	v_add_nc_u32_e32 v42, 0x2000, v35
	v_mul_lo_u16 v0, v15, 60
	v_add_nc_u32_e32 v45, 0x2c00, v35
	v_add_nc_u32_e32 v51, 0x2400, v35
	v_mul_u32_u24_sdwa v15, v15, v41 dst_sel:DWORD dst_unused:UNUSED_PAD src0_sel:WORD_0 src1_sel:DWORD
	v_add_nc_u32_e32 v52, 0x1800, v35
	v_sub_nc_u16 v34, v12, v0
	v_cmp_gt_u32_e64 s0, 60, v12
	v_mul_u32_u24_sdwa v0, v34, v1 dst_sel:DWORD dst_unused:UNUSED_PAD src0_sel:BYTE_0 src1_sel:DWORD
	v_lshlrev_b32_sdwa v13, v13, v34 dst_sel:DWORD dst_unused:UNUSED_PAD src0_sel:DWORD src1_sel:BYTE_0
	v_add_nc_u32_e32 v34, 0xb00, v35
	v_lshlrev_b32_e32 v0, 3, v0
	v_add3_u32 v13, 0, v15, v13
	s_clause 0x4
	global_load_dwordx4 v[2:5], v0, s[8:9] offset:400
	global_load_dwordx4 v[6:9], v0, s[8:9] offset:416
	;; [unrolled: 1-line block ×4, first 2 shown]
	global_load_dwordx2 v[10:11], v0, s[8:9] offset:464
	ds_read_b64 v[0:1], v35
	ds_read_b64 v[49:50], v36
	ds_read2_b64 v[30:33], v30 offset0:40 offset1:220
	ds_read2_b64 v[37:40], v37 offset0:16 offset1:196
	;; [unrolled: 1-line block ×4, first 2 shown]
	v_add_nc_u32_e32 v15, 0x400, v13
	v_add_nc_u32_e32 v53, 0x800, v13
	;; [unrolled: 1-line block ×3, first 2 shown]
	s_waitcnt vmcnt(0) lgkmcnt(0)
	s_barrier
	buffer_gl0_inv
	v_mul_f32_e32 v55, v3, v50
	v_mul_f32_e32 v3, v3, v49
	v_mul_f32_e32 v56, v5, v31
	v_mul_f32_e32 v5, v5, v30
	v_mul_f32_e32 v57, v7, v33
	v_mul_f32_e32 v7, v7, v32
	v_mul_f32_e32 v58, v9, v38
	v_mul_f32_e32 v60, v42, v25
	v_fmac_f32_e32 v55, v2, v49
	v_fma_f32 v49, v2, v50, -v3
	v_mul_f32_e32 v2, v41, v25
	v_mul_f32_e32 v25, v46, v29
	;; [unrolled: 1-line block ×6, first 2 shown]
	v_fmac_f32_e32 v56, v4, v30
	v_fma_f32 v4, v4, v31, -v5
	v_mul_f32_e32 v5, v43, v27
	v_mul_f32_e32 v27, v45, v29
	v_fmac_f32_e32 v57, v6, v32
	v_fma_f32 v6, v6, v33, -v7
	v_mul_f32_e32 v7, v47, v11
	v_fmac_f32_e32 v58, v8, v37
	v_fmac_f32_e32 v60, v41, v24
	;; [unrolled: 1-line block ×3, first 2 shown]
	v_mul_f32_e32 v29, v48, v11
	v_fma_f32 v8, v8, v38, -v9
	v_fma_f32 v9, v22, v40, -v23
	;; [unrolled: 1-line block ×5, first 2 shown]
	v_fmac_f32_e32 v3, v43, v26
	v_fma_f32 v7, v48, v10, -v7
	v_sub_f32_e32 v26, v56, v58
	v_sub_f32_e32 v27, v25, v60
	v_fmac_f32_e32 v59, v22, v39
	v_fmac_f32_e32 v29, v47, v10
	v_add_f32_e32 v22, v58, v60
	v_sub_f32_e32 v23, v4, v11
	v_add_f32_e32 v28, v56, v25
	v_add_f32_e32 v32, v1, v4
	v_sub_f32_e32 v39, v4, v8
	v_add_f32_e32 v41, v4, v11
	v_sub_f32_e32 v4, v8, v4
	v_sub_f32_e32 v42, v2, v11
	v_add_f32_e32 v62, v49, v6
	v_add_f32_e32 v63, v9, v5
	;; [unrolled: 1-line block ×5, first 2 shown]
	v_sub_f32_e32 v30, v58, v56
	v_sub_f32_e32 v31, v60, v25
	v_add_f32_e32 v33, v8, v2
	v_sub_f32_e32 v37, v56, v25
	v_add_f32_e32 v43, v55, v57
	v_add_f32_e32 v44, v59, v3
	v_sub_f32_e32 v45, v6, v7
	v_sub_f32_e32 v46, v9, v5
	;; [unrolled: 1-line block ×3, first 2 shown]
	v_add_f32_e32 v50, v57, v29
	v_sub_f32_e32 v56, v59, v57
	v_sub_f32_e32 v57, v57, v29
	;; [unrolled: 1-line block ×4, first 2 shown]
	v_add_f32_e32 v4, v4, v42
	v_fma_f32 v42, -0.5, v22, v0
	v_fma_f32 v0, -0.5, v28, v0
	v_add_f32_e32 v9, v62, v9
	v_fma_f32 v28, -0.5, v63, v49
	v_sub_f32_e32 v40, v11, v2
	v_sub_f32_e32 v48, v29, v3
	;; [unrolled: 1-line block ×3, first 2 shown]
	v_fmac_f32_e32 v49, -0.5, v27
	v_sub_f32_e32 v24, v8, v2
	v_sub_f32_e32 v38, v58, v60
	v_add_f32_e32 v10, v10, v58
	v_sub_f32_e32 v58, v7, v5
	v_add_f32_e32 v30, v30, v31
	;; [unrolled: 2-line block ×3, first 2 shown]
	v_fma_f32 v33, -0.5, v33, v1
	v_fmac_f32_e32 v1, -0.5, v41
	v_fma_f32 v41, -0.5, v44, v55
	v_add_f32_e32 v5, v9, v5
	v_fmamk_f32 v9, v57, 0x3f737871, v28
	v_add_f32_e32 v32, v39, v40
	v_add_f32_e32 v39, v43, v59
	;; [unrolled: 1-line block ×3, first 2 shown]
	v_fmac_f32_e32 v55, -0.5, v50
	v_fmamk_f32 v48, v64, 0xbf737871, v49
	v_fmac_f32_e32 v49, 0x3f737871, v64
	v_fmac_f32_e32 v28, 0xbf737871, v57
	v_add_f32_e32 v43, v65, v58
	v_add_f32_e32 v2, v8, v2
	v_fmamk_f32 v44, v37, 0x3f737871, v33
	v_fmac_f32_e32 v33, 0xbf737871, v37
	v_fmamk_f32 v8, v45, 0xbf737871, v41
	v_fmac_f32_e32 v9, 0x3f167918, v64
	v_sub_f32_e32 v61, v3, v29
	v_add_f32_e32 v6, v6, v31
	v_fmamk_f32 v27, v23, 0xbf737871, v42
	v_fmac_f32_e32 v42, 0x3f737871, v23
	v_add_f32_e32 v3, v39, v3
	v_fmamk_f32 v39, v46, 0x3f737871, v55
	v_fmac_f32_e32 v55, 0xbf737871, v46
	v_fmac_f32_e32 v48, 0x3f167918, v57
	v_fmac_f32_e32 v49, 0xbf167918, v57
	v_fmamk_f32 v31, v24, 0x3f737871, v0
	v_fmac_f32_e32 v0, 0xbf737871, v24
	v_fmac_f32_e32 v41, 0x3f737871, v45
	;; [unrolled: 1-line block ×7, first 2 shown]
	v_add_f32_e32 v22, v56, v61
	v_add_f32_e32 v10, v10, v60
	v_fmamk_f32 v47, v38, 0xbf737871, v1
	v_fmac_f32_e32 v1, 0x3f737871, v38
	v_fmac_f32_e32 v27, 0xbf167918, v24
	;; [unrolled: 1-line block ×14, first 2 shown]
	v_mul_f32_e32 v24, 0xbf167918, v9
	v_mul_f32_e32 v32, 0x3f4f1bbd, v9
	v_add_f32_e32 v10, v10, v25
	v_fmac_f32_e32 v47, 0x3f167918, v37
	v_fmac_f32_e32 v1, 0xbf167918, v37
	;; [unrolled: 1-line block ×6, first 2 shown]
	v_mul_f32_e32 v25, 0xbf737871, v48
	v_mul_f32_e32 v26, 0xbf737871, v49
	v_mul_f32_e32 v37, 0x3e9e377a, v48
	v_mul_f32_e32 v38, 0xbe9e377a, v49
	v_fmac_f32_e32 v31, 0x3e9e377a, v30
	v_fmac_f32_e32 v0, 0x3e9e377a, v30
	;; [unrolled: 1-line block ×3, first 2 shown]
	v_mul_f32_e32 v30, 0xbf167918, v28
	v_mul_f32_e32 v40, 0xbf4f1bbd, v28
	v_add_f32_e32 v11, v2, v11
	v_add_f32_e32 v23, v3, v29
	;; [unrolled: 1-line block ×3, first 2 shown]
	v_fmac_f32_e32 v24, 0x3f4f1bbd, v8
	v_fmac_f32_e32 v32, 0x3f167918, v8
	;; [unrolled: 1-line block ×10, first 2 shown]
	v_add_f32_e32 v2, v10, v23
	v_add_f32_e32 v3, v11, v5
	;; [unrolled: 1-line block ×4, first 2 shown]
	v_sub_f32_e32 v4, v10, v23
	v_sub_f32_e32 v5, v11, v5
	v_add_f32_e32 v8, v31, v25
	v_add_f32_e32 v10, v0, v26
	;; [unrolled: 1-line block ×6, first 2 shown]
	v_sub_f32_e32 v27, v27, v24
	v_sub_f32_e32 v29, v31, v25
	;; [unrolled: 1-line block ×8, first 2 shown]
	ds_write2_b64 v13, v[2:3], v[6:7] offset1:60
	ds_write2_b64 v13, v[8:9], v[10:11] offset0:120 offset1:180
	ds_write2_b64 v15, v[22:23], v[4:5] offset0:112 offset1:172
	;; [unrolled: 1-line block ×4, first 2 shown]
	s_waitcnt lgkmcnt(0)
	s_barrier
	buffer_gl0_inv
	ds_read2_b64 v[0:3], v34 offset0:8 offset1:248
	ds_read2_b64 v[8:11], v51 offset0:48 offset1:228
	ds_read_b64 v[33:34], v35 offset:12480
	ds_read_b64 v[29:30], v35
	ds_read_b64 v[27:28], v36
	ds_read2_b64 v[4:7], v52 offset0:12 offset1:192
	s_and_saveexec_b32 s1, s0
	s_cbranch_execz .LBB0_19
; %bb.18:
	ds_read_b64 v[25:26], v35 offset:4320
	ds_read_b64 v[18:19], v35 offset:9120
	;; [unrolled: 1-line block ×3, first 2 shown]
.LBB0_19:
	s_or_b32 exec_lo, exec_lo, s1
	v_lshlrev_b32_e32 v31, 1, v12
	v_mov_b32_e32 v32, 0
	v_add_nc_u32_e32 v22, 0x168, v12
	v_lshlrev_b64 v[23:24], 3, v[31:32]
	v_lshlrev_b32_e32 v31, 1, v14
	v_lshlrev_b64 v[37:38], 3, v[31:32]
	v_add_co_u32 v13, s1, s8, v23
	v_add_co_ci_u32_e64 v15, s1, s9, v24, s1
	v_lshlrev_b32_e32 v31, 1, v22
	v_add_co_u32 v39, s1, 0x1000, v13
	v_add_co_ci_u32_e64 v40, s1, 0, v15, s1
	v_add_co_u32 v13, s1, s8, v37
	v_lshlrev_b64 v[23:24], 3, v[31:32]
	v_add_co_ci_u32_e64 v15, s1, s9, v38, s1
	v_add_co_u32 v41, s1, 0x1000, v13
	global_load_dwordx4 v[37:40], v[39:40], off offset:624
	v_add_co_ci_u32_e64 v42, s1, 0, v15, s1
	v_add_co_u32 v13, s1, s8, v23
	v_add_co_ci_u32_e64 v15, s1, s9, v24, s1
	global_load_dwordx4 v[41:44], v[41:42], off offset:624
	v_add_co_u32 v23, s1, 0x1000, v13
	v_add_co_ci_u32_e64 v24, s1, 0, v15, s1
	global_load_dwordx4 v[45:48], v[23:24], off offset:624
	v_add_nc_u32_e32 v24, 0x21c, v12
	s_waitcnt vmcnt(0) lgkmcnt(0)
	s_barrier
	buffer_gl0_inv
	v_mul_f32_e32 v13, v38, v3
	v_mul_f32_e32 v15, v38, v2
	;; [unrolled: 1-line block ×4, first 2 shown]
	v_fmac_f32_e32 v13, v37, v2
	v_fma_f32 v2, v37, v3, -v15
	v_fmac_f32_e32 v23, v39, v8
	v_mul_f32_e32 v8, v42, v5
	v_mul_f32_e32 v3, v42, v4
	;; [unrolled: 1-line block ×4, first 2 shown]
	v_fma_f32 v9, v39, v9, -v31
	v_fmac_f32_e32 v8, v41, v4
	v_fma_f32 v4, v41, v5, -v3
	v_fmac_f32_e32 v15, v43, v10
	v_fma_f32 v10, v43, v11, -v37
	v_mul_f32_e32 v11, v46, v7
	v_mul_f32_e32 v3, v46, v6
	;; [unrolled: 1-line block ×4, first 2 shown]
	v_add_f32_e32 v41, v2, v9
	v_add_f32_e32 v37, v29, v13
	;; [unrolled: 1-line block ×4, first 2 shown]
	v_sub_f32_e32 v13, v13, v23
	v_fmac_f32_e32 v11, v45, v6
	v_fma_f32 v42, v45, v7, -v3
	v_fmac_f32_e32 v31, v47, v33
	v_fma_f32 v33, v47, v34, -v5
	v_fmac_f32_e32 v30, -0.5, v41
	v_add_f32_e32 v34, v4, v10
	v_add_f32_e32 v7, v8, v15
	v_sub_f32_e32 v39, v2, v9
	v_add_f32_e32 v2, v37, v23
	v_add_f32_e32 v23, v28, v4
	v_fma_f32 v29, -0.5, v38, v29
	v_add_f32_e32 v6, v27, v8
	v_fmamk_f32 v5, v13, 0x3f5db3d7, v30
	v_fmac_f32_e32 v30, 0xbf5db3d7, v13
	v_fmac_f32_e32 v28, -0.5, v34
	v_add_f32_e32 v13, v11, v31
	v_add_f32_e32 v34, v42, v33
	;; [unrolled: 1-line block ×3, first 2 shown]
	v_sub_f32_e32 v9, v4, v10
	v_sub_f32_e32 v8, v8, v15
	v_fma_f32 v27, -0.5, v7, v27
	v_add_f32_e32 v7, v23, v10
	v_add_f32_e32 v10, v0, v11
	;; [unrolled: 1-line block ×3, first 2 shown]
	v_fmamk_f32 v4, v39, 0xbf5db3d7, v29
	v_add_f32_e32 v6, v6, v15
	v_sub_f32_e32 v15, v42, v33
	v_sub_f32_e32 v11, v11, v31
	v_fma_f32 v0, -0.5, v13, v0
	v_fmac_f32_e32 v1, -0.5, v34
	v_fmac_f32_e32 v29, 0x3f5db3d7, v39
	ds_write_b64 v35, v[2:3]
	v_fmamk_f32 v2, v9, 0xbf5db3d7, v27
	v_fmamk_f32 v3, v8, 0x3f5db3d7, v28
	v_fmac_f32_e32 v27, 0x3f5db3d7, v9
	v_fmac_f32_e32 v28, 0xbf5db3d7, v8
	v_add_f32_e32 v8, v10, v31
	v_add_f32_e32 v9, v23, v33
	ds_write_b64 v35, v[4:5] offset:4800
	ds_write_b64 v35, v[29:30] offset:9600
	ds_write_b64 v36, v[6:7]
	v_fmamk_f32 v4, v15, 0xbf5db3d7, v0
	v_fmamk_f32 v5, v11, 0x3f5db3d7, v1
	v_fmac_f32_e32 v0, 0x3f5db3d7, v15
	v_fmac_f32_e32 v1, 0xbf5db3d7, v11
	ds_write_b64 v36, v[2:3] offset:4800
	ds_write_b64 v36, v[27:28] offset:9600
	;; [unrolled: 1-line block ×5, first 2 shown]
	s_and_saveexec_b32 s1, s0
	s_cbranch_execz .LBB0_21
; %bb.20:
	v_subrev_nc_u32_e32 v0, 60, v12
	v_cndmask_b32_e64 v0, v0, v24, s0
	v_lshlrev_b32_e32 v31, 1, v0
	v_lshlrev_b64 v[0:1], 3, v[31:32]
	v_add_co_u32 v0, s0, s8, v0
	v_add_co_ci_u32_e64 v1, s0, s9, v1, s0
	v_add_co_u32 v0, s0, 0x1000, v0
	v_add_co_ci_u32_e64 v1, s0, 0, v1, s0
	global_load_dwordx4 v[0:3], v[0:1], off offset:624
	s_waitcnt vmcnt(0)
	v_mul_f32_e32 v4, v18, v1
	v_mul_f32_e32 v5, v20, v3
	;; [unrolled: 1-line block ×4, first 2 shown]
	v_fma_f32 v3, v19, v0, -v4
	v_fma_f32 v4, v21, v2, -v5
	v_fmac_f32_e32 v1, v18, v0
	v_fmac_f32_e32 v6, v20, v2
	v_add_f32_e32 v5, v26, v3
	v_add_f32_e32 v0, v3, v4
	v_add_f32_e32 v8, v25, v1
	v_add_f32_e32 v2, v1, v6
	v_sub_f32_e32 v7, v1, v6
	v_sub_f32_e32 v9, v3, v4
	v_fma_f32 v1, -0.5, v0, v26
	v_add_f32_e32 v3, v5, v4
	v_fma_f32 v0, -0.5, v2, v25
	v_add_f32_e32 v2, v8, v6
	v_fmamk_f32 v5, v7, 0xbf5db3d7, v1
	v_fmac_f32_e32 v1, 0x3f5db3d7, v7
	v_fmamk_f32 v4, v9, 0x3f5db3d7, v0
	v_fmac_f32_e32 v0, 0xbf5db3d7, v9
	ds_write_b64 v35, v[2:3] offset:4320
	ds_write_b64 v35, v[0:1] offset:9120
	;; [unrolled: 1-line block ×3, first 2 shown]
.LBB0_21:
	s_or_b32 exec_lo, exec_lo, s1
	s_waitcnt lgkmcnt(0)
	s_barrier
	buffer_gl0_inv
	ds_read_b64 v[2:3], v35
	v_lshlrev_b32_e32 v0, 3, v12
	s_add_u32 s1, s8, 0x37f0
	s_addc_u32 s4, s9, 0
	s_mov_b32 s5, exec_lo
                                        ; implicit-def: $vgpr5
                                        ; implicit-def: $vgpr6
	v_sub_nc_u32_e32 v4, 0, v0
                                        ; implicit-def: $vgpr0
	v_cmpx_ne_u32_e32 0, v12
	s_xor_b32 s5, exec_lo, s5
	s_cbranch_execz .LBB0_23
; %bb.22:
	v_mov_b32_e32 v13, 0
	v_lshlrev_b64 v[0:1], 3, v[12:13]
	v_add_co_u32 v0, s0, s1, v0
	v_add_co_ci_u32_e64 v1, s0, s4, v1, s0
	global_load_dwordx2 v[7:8], v[0:1], off
	ds_read_b64 v[0:1], v4 offset:14400
	s_waitcnt lgkmcnt(0)
	v_sub_f32_e32 v5, v2, v0
	v_add_f32_e32 v6, v1, v3
	v_sub_f32_e32 v1, v3, v1
	v_add_f32_e32 v0, v0, v2
	v_mul_f32_e32 v3, 0.5, v5
	v_mul_f32_e32 v2, 0.5, v6
	;; [unrolled: 1-line block ×3, first 2 shown]
	s_waitcnt vmcnt(0)
	v_mul_f32_e32 v6, v8, v3
	v_fma_f32 v9, v2, v8, v1
	v_fma_f32 v1, v2, v8, -v1
	v_fma_f32 v5, 0.5, v0, v6
	v_fma_f32 v0, v0, 0.5, -v6
	v_fma_f32 v6, -v7, v3, v9
	v_fma_f32 v1, -v7, v3, v1
	v_fmac_f32_e32 v5, v7, v2
	v_fma_f32 v0, -v7, v2, v0
                                        ; implicit-def: $vgpr2_vgpr3
.LBB0_23:
	s_andn2_saveexec_b32 s0, s5
	s_cbranch_execz .LBB0_25
; %bb.24:
	v_mov_b32_e32 v6, 0
	s_waitcnt lgkmcnt(0)
	v_add_f32_e32 v5, v2, v3
	v_sub_f32_e32 v0, v2, v3
	ds_read_b32 v1, v6 offset:7204
	s_waitcnt lgkmcnt(0)
	v_xor_b32_e32 v2, 0x80000000, v1
	v_mov_b32_e32 v1, 0
	ds_write_b32 v6, v2 offset:7204
.LBB0_25:
	s_or_b32 exec_lo, exec_lo, s0
	v_mov_b32_e32 v15, 0
	s_waitcnt lgkmcnt(0)
	v_lshlrev_b64 v[2:3], 3, v[14:15]
	v_mov_b32_e32 v23, v15
	v_mov_b32_e32 v25, v15
	v_add_nc_u32_e32 v14, 0x2d0, v12
	v_lshlrev_b64 v[7:8], 3, v[22:23]
	v_add_co_u32 v2, s0, s1, v2
	v_add_co_ci_u32_e64 v3, s0, s4, v3, s0
	v_lshlrev_b64 v[9:10], 3, v[24:25]
	v_add_co_u32 v7, s0, s1, v7
	global_load_dwordx2 v[2:3], v[2:3], off
	v_add_co_ci_u32_e64 v8, s0, s4, v8, s0
	v_add_co_u32 v9, s0, s1, v9
	v_add_co_ci_u32_e64 v10, s0, s4, v10, s0
	global_load_dwordx2 v[7:8], v[7:8], off
	v_lshlrev_b64 v[13:14], 3, v[14:15]
	global_load_dwordx2 v[9:10], v[9:10], off
	v_add_co_u32 v13, s0, s1, v13
	v_add_co_ci_u32_e64 v14, s0, s4, v14, s0
	global_load_dwordx2 v[13:14], v[13:14], off
	ds_write2_b32 v35, v5, v6 offset1:1
	ds_write_b64 v4, v[0:1] offset:14400
	ds_read_b64 v[0:1], v36
	ds_read_b64 v[5:6], v4 offset:12960
	s_waitcnt lgkmcnt(0)
	v_sub_f32_e32 v11, v0, v5
	v_add_f32_e32 v18, v1, v6
	v_sub_f32_e32 v1, v1, v6
	v_add_f32_e32 v0, v0, v5
	v_mul_f32_e32 v6, 0.5, v11
	v_mul_f32_e32 v11, 0.5, v18
	;; [unrolled: 1-line block ×3, first 2 shown]
	s_waitcnt vmcnt(3)
	v_mul_f32_e32 v5, v3, v6
	v_fma_f32 v18, v11, v3, v1
	v_fma_f32 v1, v11, v3, -v1
	v_fma_f32 v3, 0.5, v0, v5
	v_fma_f32 v0, v0, 0.5, -v5
	v_fma_f32 v5, -v2, v6, v18
	v_fma_f32 v1, -v2, v6, v1
	v_fmac_f32_e32 v3, v2, v11
	v_fma_f32 v0, -v2, v11, v0
	ds_write2_b32 v36, v3, v5 offset1:1
	ds_write_b64 v4, v[0:1] offset:12960
	ds_read_b64 v[0:1], v35 offset:2880
	ds_read_b64 v[2:3], v4 offset:11520
	s_waitcnt lgkmcnt(0)
	v_sub_f32_e32 v5, v0, v2
	v_add_f32_e32 v6, v1, v3
	v_sub_f32_e32 v1, v1, v3
	v_add_f32_e32 v0, v0, v2
	v_mul_f32_e32 v3, 0.5, v5
	v_mul_f32_e32 v5, 0.5, v6
	v_mul_f32_e32 v1, 0.5, v1
	s_waitcnt vmcnt(2)
	v_mul_f32_e32 v2, v8, v3
	v_fma_f32 v6, v5, v8, v1
	v_fma_f32 v1, v5, v8, -v1
	v_fma_f32 v8, 0.5, v0, v2
	v_fma_f32 v0, v0, 0.5, -v2
	v_add_nc_u32_e32 v2, 0x800, v35
	v_fma_f32 v6, -v7, v3, v6
	v_fma_f32 v1, -v7, v3, v1
	v_fmac_f32_e32 v8, v7, v5
	v_fma_f32 v0, -v7, v5, v0
	ds_write2_b32 v2, v8, v6 offset0:208 offset1:209
	ds_write_b64 v4, v[0:1] offset:11520
	ds_read_b64 v[0:1], v35 offset:4320
	ds_read_b64 v[2:3], v4 offset:10080
	s_waitcnt lgkmcnt(0)
	v_sub_f32_e32 v5, v0, v2
	v_add_f32_e32 v6, v1, v3
	v_sub_f32_e32 v1, v1, v3
	v_add_f32_e32 v0, v0, v2
	v_mul_f32_e32 v3, 0.5, v5
	v_mul_f32_e32 v5, 0.5, v6
	v_mul_f32_e32 v1, 0.5, v1
	s_waitcnt vmcnt(1)
	v_mul_f32_e32 v2, v10, v3
	v_fma_f32 v6, v5, v10, v1
	v_fma_f32 v1, v5, v10, -v1
	v_fma_f32 v7, 0.5, v0, v2
	v_fma_f32 v0, v0, 0.5, -v2
	v_add_nc_u32_e32 v2, 0x1000, v35
	v_fma_f32 v6, -v9, v3, v6
	v_fma_f32 v1, -v9, v3, v1
	v_fmac_f32_e32 v7, v9, v5
	v_fma_f32 v0, -v9, v5, v0
	ds_write2_b32 v2, v7, v6 offset0:56 offset1:57
	;; [unrolled: 23-line block ×3, first 2 shown]
	ds_write_b64 v4, v[0:1] offset:8640
	s_waitcnt lgkmcnt(0)
	s_barrier
	buffer_gl0_inv
	s_and_saveexec_b32 s0, vcc_lo
	s_cbranch_execz .LBB0_28
; %bb.26:
	ds_read2_b64 v[2:5], v35 offset1:180
	v_mov_b32_e32 v13, v15
	v_add_nc_u32_e32 v6, 0xa00, v35
	v_add_co_u32 v0, vcc_lo, s2, v16
	v_add_co_ci_u32_e32 v1, vcc_lo, s3, v17, vcc_lo
	v_lshlrev_b64 v[10:11], 3, v[12:13]
	v_add_nc_u32_e32 v13, 0x1600, v35
	ds_read2_b64 v[6:9], v6 offset0:40 offset1:220
	v_add_nc_u32_e32 v17, 0x2c00, v35
	v_add_co_u32 v10, vcc_lo, v0, v10
	ds_read2_b64 v[13:16], v13 offset0:16 offset1:196
	v_add_co_ci_u32_e32 v11, vcc_lo, v1, v11, vcc_lo
	v_add_co_u32 v21, vcc_lo, 0x800, v10
	s_waitcnt lgkmcnt(2)
	global_store_dwordx2 v[10:11], v[2:3], off
	global_store_dwordx2 v[10:11], v[4:5], off offset:1440
	v_add_nc_u32_e32 v2, 0x2000, v35
	v_add_co_ci_u32_e32 v22, vcc_lo, 0, v11, vcc_lo
	v_add_co_u32 v23, vcc_lo, 0x1000, v10
	ds_read2_b64 v[2:5], v2 offset0:56 offset1:236
	v_add_co_ci_u32_e32 v24, vcc_lo, 0, v11, vcc_lo
	v_add_co_u32 v25, vcc_lo, 0x1800, v10
	ds_read2_b64 v[17:20], v17 offset0:32 offset1:212
	v_add_co_ci_u32_e32 v26, vcc_lo, 0, v11, vcc_lo
	s_waitcnt lgkmcnt(3)
	global_store_dwordx2 v[21:22], v[6:7], off offset:832
	global_store_dwordx2 v[23:24], v[8:9], off offset:224
	s_waitcnt lgkmcnt(2)
	global_store_dwordx2 v[23:24], v[13:14], off offset:1664
	global_store_dwordx2 v[25:26], v[15:16], off offset:1056
	v_add_co_u32 v6, vcc_lo, 0x2000, v10
	v_add_co_ci_u32_e32 v7, vcc_lo, 0, v11, vcc_lo
	v_add_co_u32 v8, vcc_lo, 0x2800, v10
	v_add_co_ci_u32_e32 v9, vcc_lo, 0, v11, vcc_lo
	v_add_co_u32 v10, vcc_lo, 0x3000, v10
	v_add_co_ci_u32_e32 v11, vcc_lo, 0, v11, vcc_lo
	v_cmp_eq_u32_e32 vcc_lo, 0xb3, v12
	s_waitcnt lgkmcnt(1)
	global_store_dwordx2 v[6:7], v[2:3], off offset:448
	global_store_dwordx2 v[6:7], v[4:5], off offset:1888
	s_waitcnt lgkmcnt(0)
	global_store_dwordx2 v[8:9], v[17:18], off offset:1280
	global_store_dwordx2 v[10:11], v[19:20], off offset:672
	s_and_b32 exec_lo, exec_lo, vcc_lo
	s_cbranch_execz .LBB0_28
; %bb.27:
	v_mov_b32_e32 v2, 0
	v_add_co_u32 v0, vcc_lo, 0x3800, v0
	v_add_co_ci_u32_e32 v1, vcc_lo, 0, v1, vcc_lo
	ds_read_b64 v[2:3], v2 offset:14400
	s_waitcnt lgkmcnt(0)
	global_store_dwordx2 v[0:1], v[2:3], off offset:64
.LBB0_28:
	s_endpgm
	.section	.rodata,"a",@progbits
	.p2align	6, 0x0
	.amdhsa_kernel fft_rtc_back_len1800_factors_10_6_10_3_wgs_180_tpt_180_halfLds_sp_ip_CI_unitstride_sbrr_R2C_dirReg
		.amdhsa_group_segment_fixed_size 0
		.amdhsa_private_segment_fixed_size 0
		.amdhsa_kernarg_size 88
		.amdhsa_user_sgpr_count 6
		.amdhsa_user_sgpr_private_segment_buffer 1
		.amdhsa_user_sgpr_dispatch_ptr 0
		.amdhsa_user_sgpr_queue_ptr 0
		.amdhsa_user_sgpr_kernarg_segment_ptr 1
		.amdhsa_user_sgpr_dispatch_id 0
		.amdhsa_user_sgpr_flat_scratch_init 0
		.amdhsa_user_sgpr_private_segment_size 0
		.amdhsa_wavefront_size32 1
		.amdhsa_uses_dynamic_stack 0
		.amdhsa_system_sgpr_private_segment_wavefront_offset 0
		.amdhsa_system_sgpr_workgroup_id_x 1
		.amdhsa_system_sgpr_workgroup_id_y 0
		.amdhsa_system_sgpr_workgroup_id_z 0
		.amdhsa_system_sgpr_workgroup_info 0
		.amdhsa_system_vgpr_workitem_id 0
		.amdhsa_next_free_vgpr 66
		.amdhsa_next_free_sgpr 21
		.amdhsa_reserve_vcc 1
		.amdhsa_reserve_flat_scratch 0
		.amdhsa_float_round_mode_32 0
		.amdhsa_float_round_mode_16_64 0
		.amdhsa_float_denorm_mode_32 3
		.amdhsa_float_denorm_mode_16_64 3
		.amdhsa_dx10_clamp 1
		.amdhsa_ieee_mode 1
		.amdhsa_fp16_overflow 0
		.amdhsa_workgroup_processor_mode 1
		.amdhsa_memory_ordered 1
		.amdhsa_forward_progress 0
		.amdhsa_shared_vgpr_count 0
		.amdhsa_exception_fp_ieee_invalid_op 0
		.amdhsa_exception_fp_denorm_src 0
		.amdhsa_exception_fp_ieee_div_zero 0
		.amdhsa_exception_fp_ieee_overflow 0
		.amdhsa_exception_fp_ieee_underflow 0
		.amdhsa_exception_fp_ieee_inexact 0
		.amdhsa_exception_int_div_zero 0
	.end_amdhsa_kernel
	.text
.Lfunc_end0:
	.size	fft_rtc_back_len1800_factors_10_6_10_3_wgs_180_tpt_180_halfLds_sp_ip_CI_unitstride_sbrr_R2C_dirReg, .Lfunc_end0-fft_rtc_back_len1800_factors_10_6_10_3_wgs_180_tpt_180_halfLds_sp_ip_CI_unitstride_sbrr_R2C_dirReg
                                        ; -- End function
	.section	.AMDGPU.csdata,"",@progbits
; Kernel info:
; codeLenInByte = 7432
; NumSgprs: 23
; NumVgprs: 66
; ScratchSize: 0
; MemoryBound: 0
; FloatMode: 240
; IeeeMode: 1
; LDSByteSize: 0 bytes/workgroup (compile time only)
; SGPRBlocks: 2
; VGPRBlocks: 8
; NumSGPRsForWavesPerEU: 23
; NumVGPRsForWavesPerEU: 66
; Occupancy: 12
; WaveLimiterHint : 1
; COMPUTE_PGM_RSRC2:SCRATCH_EN: 0
; COMPUTE_PGM_RSRC2:USER_SGPR: 6
; COMPUTE_PGM_RSRC2:TRAP_HANDLER: 0
; COMPUTE_PGM_RSRC2:TGID_X_EN: 1
; COMPUTE_PGM_RSRC2:TGID_Y_EN: 0
; COMPUTE_PGM_RSRC2:TGID_Z_EN: 0
; COMPUTE_PGM_RSRC2:TIDIG_COMP_CNT: 0
	.text
	.p2alignl 6, 3214868480
	.fill 48, 4, 3214868480
	.type	__hip_cuid_66dabc0a53febb74,@object ; @__hip_cuid_66dabc0a53febb74
	.section	.bss,"aw",@nobits
	.globl	__hip_cuid_66dabc0a53febb74
__hip_cuid_66dabc0a53febb74:
	.byte	0                               ; 0x0
	.size	__hip_cuid_66dabc0a53febb74, 1

	.ident	"AMD clang version 19.0.0git (https://github.com/RadeonOpenCompute/llvm-project roc-6.4.0 25133 c7fe45cf4b819c5991fe208aaa96edf142730f1d)"
	.section	".note.GNU-stack","",@progbits
	.addrsig
	.addrsig_sym __hip_cuid_66dabc0a53febb74
	.amdgpu_metadata
---
amdhsa.kernels:
  - .args:
      - .actual_access:  read_only
        .address_space:  global
        .offset:         0
        .size:           8
        .value_kind:     global_buffer
      - .offset:         8
        .size:           8
        .value_kind:     by_value
      - .actual_access:  read_only
        .address_space:  global
        .offset:         16
        .size:           8
        .value_kind:     global_buffer
      - .actual_access:  read_only
        .address_space:  global
        .offset:         24
        .size:           8
        .value_kind:     global_buffer
      - .offset:         32
        .size:           8
        .value_kind:     by_value
      - .actual_access:  read_only
        .address_space:  global
        .offset:         40
        .size:           8
        .value_kind:     global_buffer
      - .actual_access:  read_only
        .address_space:  global
        .offset:         48
        .size:           8
        .value_kind:     global_buffer
      - .offset:         56
        .size:           4
        .value_kind:     by_value
      - .actual_access:  read_only
        .address_space:  global
        .offset:         64
        .size:           8
        .value_kind:     global_buffer
      - .actual_access:  read_only
        .address_space:  global
        .offset:         72
        .size:           8
        .value_kind:     global_buffer
      - .address_space:  global
        .offset:         80
        .size:           8
        .value_kind:     global_buffer
    .group_segment_fixed_size: 0
    .kernarg_segment_align: 8
    .kernarg_segment_size: 88
    .language:       OpenCL C
    .language_version:
      - 2
      - 0
    .max_flat_workgroup_size: 180
    .name:           fft_rtc_back_len1800_factors_10_6_10_3_wgs_180_tpt_180_halfLds_sp_ip_CI_unitstride_sbrr_R2C_dirReg
    .private_segment_fixed_size: 0
    .sgpr_count:     23
    .sgpr_spill_count: 0
    .symbol:         fft_rtc_back_len1800_factors_10_6_10_3_wgs_180_tpt_180_halfLds_sp_ip_CI_unitstride_sbrr_R2C_dirReg.kd
    .uniform_work_group_size: 1
    .uses_dynamic_stack: false
    .vgpr_count:     66
    .vgpr_spill_count: 0
    .wavefront_size: 32
    .workgroup_processor_mode: 1
amdhsa.target:   amdgcn-amd-amdhsa--gfx1030
amdhsa.version:
  - 1
  - 2
...

	.end_amdgpu_metadata
